;; amdgpu-corpus repo=triton-lang/triton kind=triton arch=gfx950 opt=O3 lang=triton
	.amdgcn_target "amdgcn-amd-amdhsa--gfx950"
	.amdhsa_code_object_version 5
	.text
	.globl	_layer_norm_bwd_dwdb            ; -- Begin function _layer_norm_bwd_dwdb
	.p2align	8
	.type	_layer_norm_bwd_dwdb,@function
_layer_norm_bwd_dwdb:                   ; @_layer_norm_bwd_dwdb
.Lfunc_begin0:
	.cfi_sections .debug_frame
	.cfi_startproc
; %bb.140:
	.file	1 "/root/src/amdgpu-assembly/repos/triton-lang__triton-aot" "layer_norm_bwd.py"
	.loc	1 73 0 prologue_end             ; layer_norm_bwd.py:73:0
	s_load_dwordx2 s[2:3], s[0:1], 0x0
	s_load_dwordx8 s[4:11], s[0:1], 0x8
	s_load_dwordx4 s[12:15], s[0:1], 0x28
	s_waitcnt lgkmcnt(0)
	s_branch .LBB0_0
	.loc	1 0 0 is_stmt 0                 ; :0:0
.Ltmp0:
	.p2align	8
; %bb.141:
.LBB0_0:
                                        ; implicit-def: $vgpr168 : SGPR spill to VGPR lane
.Ltmp1:
	.loc	1 82 45 is_stmt 1               ; layer_norm_bwd.py:82:45
	v_and_b32_e32 v3, 63, v0
	v_writelane_b32 v168, s8, 0
	.loc	1 82 17 is_stmt 0               ; layer_norm_bwd.py:82:17
	s_lshl_b32 s0, s16, 7
	s_nop 0
	v_writelane_b32 v168, s9, 1
	.loc	1 96 30 is_stmt 1               ; layer_norm_bwd.py:96:30
	v_readfirstlane_b32 s8, v0
	.loc	1 82 45                         ; layer_norm_bwd.py:82:45
	s_and_b32 s1, s8, 64
	v_or_b32_e32 v1, s1, v3
	s_bfe_u32 s13, s8, 0x20007
	.loc	1 82 32 is_stmt 0               ; layer_norm_bwd.py:82:32
	v_or_b32_e32 v2, s0, v1
	.loc	1 86 25 is_stmt 1               ; layer_norm_bwd.py:86:25
	s_cmp_lt_i32 s10, 1
	.loc	1 88 54                         ; layer_norm_bwd.py:88:54
	v_cmp_gt_i32_e32 vcc, s11, v2
	v_writelane_b32 v168, s8, 2
	.loc	1 86 25                         ; layer_norm_bwd.py:86:25
	s_cbranch_scc1 .LBB0_132
; %bb.1:                                ; %.lr.ph.preheader
	.loc	1 0 25 is_stmt 0                ; layer_norm_bwd.py:0:25
	v_writelane_b32 v168, s6, 3
	.loc	1 90 22 is_stmt 1               ; layer_norm_bwd.py:90:22
	s_or_b32 s12, s13, 28
	s_mul_i32 s12, s11, s12
	v_writelane_b32 v168, s7, 4
	s_mul_i32 s6, s11, s13
	s_add_i32 s6, s6, s0
	s_add_i32 s14, s6, s1
	s_or_b32 s6, s13, 0x7c
	s_mul_i32 s6, s11, s6
	s_add_i32 s6, s6, s0
	s_add_i32 s6, s6, s1
	v_writelane_b32 v168, s6, 5
	s_or_b32 s6, s13, 0x78
	s_mul_i32 s6, s11, s6
	s_add_i32 s6, s6, s0
	s_add_i32 s6, s6, s1
	v_writelane_b32 v168, s6, 6
	;; [unrolled: 5-line block ×7, first 2 shown]
	s_or_b32 s6, s13, 0x60
	s_mul_i32 s6, s11, s6
	s_add_i32 s6, s6, s0
	s_add_i32 s88, s6, s1
	s_or_b32 s6, s13, 0x5c
	s_mul_i32 s6, s11, s6
	s_add_i32 s6, s6, s0
	s_add_i32 s89, s6, s1
	;; [unrolled: 4-line block ×9, first 2 shown]
	s_add_i32 s96, s6, s1
	s_or_b32 s6, s13, 60
	s_add_i32 s78, s12, s1
	s_or_b32 s12, s13, 24
	s_mul_i32 s6, s11, s6
	s_mul_i32 s12, s11, s12
	s_add_i32 s6, s6, s0
	s_add_i32 s12, s12, s0
	s_add_i32 s97, s6, s1
	s_or_b32 s6, s13, 56
	s_add_i32 s79, s12, s1
	s_or_b32 s12, s13, 20
	s_mul_i32 s6, s11, s6
	s_mul_i32 s12, s11, s12
	s_add_i32 s6, s6, s0
	s_add_i32 s12, s12, s0
	;; [unrolled: 8-line block ×4, first 2 shown]
	s_add_i32 s33, s6, s1
	s_or_b32 s6, s13, 44
	s_or_b32 s8, s13, 36
	s_add_i32 s83, s12, s1
	s_or_b32 s12, s13, 8
	s_mul_i32 s6, s11, s6
	s_mul_i32 s8, s11, s8
	;; [unrolled: 1-line block ×3, first 2 shown]
	s_add_i32 s6, s6, s0
	s_add_i32 s8, s8, s0
	;; [unrolled: 1-line block ×4, first 2 shown]
	s_or_b32 s6, s13, 40
	s_add_i32 s9, s8, s1
	s_or_b32 s8, s13, 32
	s_add_i32 s84, s12, s1
	s_or_b32 s12, s13, 4
	s_lshl_b32 s80, s11, 7
	s_mul_i32 s6, s11, s6
	s_mul_i32 s8, s11, s8
	;; [unrolled: 1-line block ×3, first 2 shown]
	s_add_i32 s6, s6, s0
	s_add_i32 s8, s8, s0
	;; [unrolled: 1-line block ×3, first 2 shown]
	v_mov_b32_e32 v4, 0
	s_add_i32 s6, s6, s1
	s_add_i32 s8, s8, s1
	;; [unrolled: 1-line block ×3, first 2 shown]
	s_mov_b32 s85, 0
	v_mov_b32_e32 v5, v4
	v_mov_b32_e32 v6, v4
	;; [unrolled: 1-line block ×63, first 2 shown]
	v_writelane_b32 v168, s13, 12
	s_branch .LBB0_3
.LBB0_2:                                ;   in Loop: Header=BB0_3 Depth=1
	.loc	1 0 22 is_stmt 0                ; layer_norm_bwd.py:0:22
	s_or_b64 exec, exec, s[0:1]
	.loc	1 86 25 is_stmt 1               ; layer_norm_bwd.py:86:25
	v_readlane_b32 s0, v168, 5
	s_add_i32 s0, s0, s80
	v_readlane_b32 s14, v168, 13
	v_writelane_b32 v168, s0, 5
	s_addk_i32 s85, 0x80
	v_readlane_b32 s0, v168, 6
	s_add_i32 s0, s0, s80
	s_add_i32 s14, s14, s80
	v_writelane_b32 v168, s0, 6
	s_add_i32 s88, s88, s80
	v_readlane_b32 s0, v168, 7
	s_add_i32 s0, s0, s80
	s_add_i32 s89, s89, s80
	v_writelane_b32 v168, s0, 7
	s_add_i32 s90, s90, s80
	;; [unrolled: 5-line block ×5, first 2 shown]
	v_readlane_b32 s0, v168, 11
	s_add_i32 s0, s0, s80
	s_add_i32 s97, s97, s80
	;; [unrolled: 1-line block ×16, first 2 shown]
	.loc	1 90 14                         ; layer_norm_bwd.py:90:14
	s_waitcnt vmcnt(0)
	v_pk_add_f32 v[66:67], v[66:67], v[68:69]
	v_pk_add_f32 v[64:65], v[64:65], v[70:71]
	;; [unrolled: 1-line block ×16, first 2 shown]
	.loc	1 91 14                         ; layer_norm_bwd.py:91:14
	v_pk_add_f32 v[58:59], v[58:59], v[136:137]
	v_pk_add_f32 v[54:55], v[54:55], v[92:93]
	;; [unrolled: 1-line block ×15, first 2 shown]
	.loc	1 86 25                         ; layer_norm_bwd.py:86:25
	s_cmp_lt_i32 s85, s10
	.loc	1 91 14                         ; layer_norm_bwd.py:91:14
	v_pk_add_f32 v[4:5], v[4:5], v[116:117]
	.loc	1 86 25                         ; layer_norm_bwd.py:86:25
	v_writelane_b32 v168, s0, 11
	s_cbranch_scc0 .LBB0_131
.LBB0_3:                                ; %.lr.ph
                                        ; =>This Inner Loop Header: Depth=1
	.loc	1 87 19                         ; layer_norm_bwd.py:87:19
	v_readlane_b32 s0, v168, 12
	s_add_i32 s76, s0, s85
	.loc	1 88 32                         ; layer_norm_bwd.py:88:32
	s_cmp_lt_i32 s76, s10
	s_cselect_b64 s[0:1], -1, 0
	.loc	1 89 35                         ; layer_norm_bwd.py:89:35
	v_add_u32_e32 v92, s14, v3
	.loc	1 88 38                         ; layer_norm_bwd.py:88:38
	s_and_b64 s[0:1], vcc, s[0:1]
	v_ashrrev_i32_e32 v93, 31, v92
	v_mov_b32_e32 v68, 0
	v_writelane_b32 v168, s14, 13
	.loc	1 90 22                         ; layer_norm_bwd.py:90:22
	s_and_saveexec_b64 s[12:13], s[0:1]
	s_cbranch_execz .LBB0_5
; %bb.4:                                ;   in Loop: Header=BB0_3 Depth=1
	.loc	1 0 22 is_stmt 0                ; layer_norm_bwd.py:0:22
	v_lshl_add_u64 v[68:69], v[92:93], 2, s[2:3]
	.loc	1 90 22                         ; layer_norm_bwd.py:90:22
	global_load_dword v68, v[68:69], off
.LBB0_5:                                ;   in Loop: Header=BB0_3 Depth=1
	.loc	1 0 22                          ; layer_norm_bwd.py:0:22
	s_or_b64 exec, exec, s[12:13]
	.loc	1 87 19 is_stmt 1               ; layer_norm_bwd.py:87:19
	s_add_i32 s12, s76, 4
	.loc	1 88 32                         ; layer_norm_bwd.py:88:32
	s_cmp_lt_i32 s12, s10
	s_cselect_b64 s[12:13], -1, 0
	.loc	1 89 35                         ; layer_norm_bwd.py:89:35
	v_add_u32_e32 v96, s11, v3
	.loc	1 88 38                         ; layer_norm_bwd.py:88:38
	s_and_b64 s[12:13], vcc, s[12:13]
	.loc	1 90 27                         ; layer_norm_bwd.py:90:27
	v_ashrrev_i32_e32 v97, 31, v96
	v_mov_b32_e32 v70, 0
	v_mov_b32_e32 v69, 0
	.loc	1 90 22 is_stmt 0               ; layer_norm_bwd.py:90:22
	s_and_saveexec_b64 s[14:15], s[12:13]
	s_cbranch_execz .LBB0_7
; %bb.6:                                ;   in Loop: Header=BB0_3 Depth=1
	.loc	1 90 27                         ; layer_norm_bwd.py:90:27
	v_lshl_add_u64 v[72:73], v[96:97], 2, s[2:3]
	.loc	1 90 22                         ; layer_norm_bwd.py:90:22
	global_load_dword v69, v[72:73], off
.LBB0_7:                                ;   in Loop: Header=BB0_3 Depth=1
	.loc	1 0 22                          ; layer_norm_bwd.py:0:22
	s_or_b64 exec, exec, s[14:15]
	.loc	1 87 19 is_stmt 1               ; layer_norm_bwd.py:87:19
	s_add_i32 s14, s76, 8
	.loc	1 88 32                         ; layer_norm_bwd.py:88:32
	s_cmp_lt_i32 s14, s10
	s_cselect_b64 s[14:15], -1, 0
	.loc	1 89 35                         ; layer_norm_bwd.py:89:35
	v_add_u32_e32 v98, s84, v3
	.loc	1 88 38                         ; layer_norm_bwd.py:88:38
	s_and_b64 s[14:15], vcc, s[14:15]
	.loc	1 90 27                         ; layer_norm_bwd.py:90:27
	v_ashrrev_i32_e32 v99, 31, v98
	.loc	1 90 22 is_stmt 0               ; layer_norm_bwd.py:90:22
	s_and_saveexec_b64 s[16:17], s[14:15]
	s_cbranch_execz .LBB0_9
; %bb.8:                                ;   in Loop: Header=BB0_3 Depth=1
	.loc	1 90 27                         ; layer_norm_bwd.py:90:27
	v_lshl_add_u64 v[70:71], v[98:99], 2, s[2:3]
	.loc	1 90 22                         ; layer_norm_bwd.py:90:22
	global_load_dword v70, v[70:71], off
.LBB0_9:                                ;   in Loop: Header=BB0_3 Depth=1
	.loc	1 0 22                          ; layer_norm_bwd.py:0:22
	s_or_b64 exec, exec, s[16:17]
	.loc	1 87 19 is_stmt 1               ; layer_norm_bwd.py:87:19
	s_add_i32 s16, s76, 12
	.loc	1 88 32                         ; layer_norm_bwd.py:88:32
	s_cmp_lt_i32 s16, s10
	s_cselect_b64 s[16:17], -1, 0
	.loc	1 89 35                         ; layer_norm_bwd.py:89:35
	v_add_u32_e32 v100, s83, v3
	.loc	1 88 38                         ; layer_norm_bwd.py:88:38
	s_and_b64 s[16:17], vcc, s[16:17]
	.loc	1 90 27                         ; layer_norm_bwd.py:90:27
	v_ashrrev_i32_e32 v101, 31, v100
	v_mov_b32_e32 v72, 0
	v_mov_b32_e32 v71, 0
	.loc	1 90 22 is_stmt 0               ; layer_norm_bwd.py:90:22
	s_and_saveexec_b64 s[18:19], s[16:17]
	s_cbranch_execz .LBB0_11
; %bb.10:                               ;   in Loop: Header=BB0_3 Depth=1
	.loc	1 90 27                         ; layer_norm_bwd.py:90:27
	v_lshl_add_u64 v[74:75], v[100:101], 2, s[2:3]
	.loc	1 90 22                         ; layer_norm_bwd.py:90:22
	global_load_dword v71, v[74:75], off
.LBB0_11:                               ;   in Loop: Header=BB0_3 Depth=1
	.loc	1 0 22                          ; layer_norm_bwd.py:0:22
	s_or_b64 exec, exec, s[18:19]
	.loc	1 87 19 is_stmt 1               ; layer_norm_bwd.py:87:19
	s_add_i32 s18, s76, 16
	.loc	1 88 32                         ; layer_norm_bwd.py:88:32
	s_cmp_lt_i32 s18, s10
	s_cselect_b64 s[18:19], -1, 0
	.loc	1 89 35                         ; layer_norm_bwd.py:89:35
	v_add_u32_e32 v102, s82, v3
	.loc	1 88 38                         ; layer_norm_bwd.py:88:38
	s_and_b64 s[18:19], vcc, s[18:19]
	.loc	1 90 27                         ; layer_norm_bwd.py:90:27
	v_ashrrev_i32_e32 v103, 31, v102
	.loc	1 90 22 is_stmt 0               ; layer_norm_bwd.py:90:22
	s_and_saveexec_b64 s[20:21], s[18:19]
	s_cbranch_execz .LBB0_13
; %bb.12:                               ;   in Loop: Header=BB0_3 Depth=1
	.loc	1 90 27                         ; layer_norm_bwd.py:90:27
	v_lshl_add_u64 v[72:73], v[102:103], 2, s[2:3]
	.loc	1 90 22                         ; layer_norm_bwd.py:90:22
	global_load_dword v72, v[72:73], off
.LBB0_13:                               ;   in Loop: Header=BB0_3 Depth=1
	.loc	1 0 22                          ; layer_norm_bwd.py:0:22
	s_or_b64 exec, exec, s[20:21]
	.loc	1 87 19 is_stmt 1               ; layer_norm_bwd.py:87:19
	s_add_i32 s20, s76, 20
	.loc	1 88 32                         ; layer_norm_bwd.py:88:32
	s_cmp_lt_i32 s20, s10
	s_cselect_b64 s[20:21], -1, 0
	.loc	1 89 35                         ; layer_norm_bwd.py:89:35
	v_add_u32_e32 v104, s81, v3
	.loc	1 88 38                         ; layer_norm_bwd.py:88:38
	s_and_b64 s[20:21], vcc, s[20:21]
	.loc	1 90 27                         ; layer_norm_bwd.py:90:27
	v_ashrrev_i32_e32 v105, 31, v104
	v_mov_b32_e32 v74, 0
	v_mov_b32_e32 v73, 0
	.loc	1 90 22 is_stmt 0               ; layer_norm_bwd.py:90:22
	s_and_saveexec_b64 s[22:23], s[20:21]
	s_cbranch_execz .LBB0_15
; %bb.14:                               ;   in Loop: Header=BB0_3 Depth=1
	.loc	1 90 27                         ; layer_norm_bwd.py:90:27
	v_lshl_add_u64 v[76:77], v[104:105], 2, s[2:3]
	.loc	1 90 22                         ; layer_norm_bwd.py:90:22
	global_load_dword v73, v[76:77], off
.LBB0_15:                               ;   in Loop: Header=BB0_3 Depth=1
	.loc	1 0 22                          ; layer_norm_bwd.py:0:22
	s_or_b64 exec, exec, s[22:23]
	.loc	1 87 19 is_stmt 1               ; layer_norm_bwd.py:87:19
	s_add_i32 s22, s76, 24
	.loc	1 88 32                         ; layer_norm_bwd.py:88:32
	s_cmp_lt_i32 s22, s10
	s_cselect_b64 s[22:23], -1, 0
	.loc	1 89 35                         ; layer_norm_bwd.py:89:35
	v_add_u32_e32 v108, s79, v3
	.loc	1 88 38                         ; layer_norm_bwd.py:88:38
	s_and_b64 s[22:23], vcc, s[22:23]
	.loc	1 90 27                         ; layer_norm_bwd.py:90:27
	v_ashrrev_i32_e32 v109, 31, v108
	.loc	1 90 22 is_stmt 0               ; layer_norm_bwd.py:90:22
	s_and_saveexec_b64 s[24:25], s[22:23]
	s_cbranch_execz .LBB0_17
; %bb.16:                               ;   in Loop: Header=BB0_3 Depth=1
	.loc	1 90 27                         ; layer_norm_bwd.py:90:27
	v_lshl_add_u64 v[74:75], v[108:109], 2, s[2:3]
	.loc	1 90 22                         ; layer_norm_bwd.py:90:22
	global_load_dword v74, v[74:75], off
.LBB0_17:                               ;   in Loop: Header=BB0_3 Depth=1
	;; [unrolled: 46-line block ×11, first 2 shown]
	.loc	1 0 22                          ; layer_norm_bwd.py:0:22
	s_or_b64 exec, exec, s[62:63]
	.loc	1 87 19 is_stmt 1               ; layer_norm_bwd.py:87:19
	s_add_i32 s62, s76, 0x64
	.loc	1 88 32                         ; layer_norm_bwd.py:88:32
	s_cmp_lt_i32 s62, s10
	.loc	1 89 35                         ; layer_norm_bwd.py:89:35
	v_readlane_b32 s64, v168, 11
	.loc	1 88 32                         ; layer_norm_bwd.py:88:32
	s_cselect_b64 s[62:63], -1, 0
	.loc	1 88 38 is_stmt 0               ; layer_norm_bwd.py:88:38
	s_and_b64 s[62:63], vcc, s[62:63]
	.loc	1 89 35 is_stmt 1               ; layer_norm_bwd.py:89:35
	v_add_u32_e32 v152, s64, v3
	.loc	1 90 27                         ; layer_norm_bwd.py:90:27
	v_ashrrev_i32_e32 v153, 31, v152
	v_mov_b32_e32 v106, 0
	v_mov_b32_e32 v95, 0
	.loc	1 90 22 is_stmt 0               ; layer_norm_bwd.py:90:22
	s_and_saveexec_b64 s[64:65], s[62:63]
	s_cbranch_execz .LBB0_55
; %bb.54:                               ;   in Loop: Header=BB0_3 Depth=1
	.loc	1 90 27                         ; layer_norm_bwd.py:90:27
	v_lshl_add_u64 v[120:121], v[152:153], 2, s[2:3]
	.loc	1 90 22                         ; layer_norm_bwd.py:90:22
	global_load_dword v95, v[120:121], off
.LBB0_55:                               ;   in Loop: Header=BB0_3 Depth=1
	.loc	1 0 22                          ; layer_norm_bwd.py:0:22
	s_or_b64 exec, exec, s[64:65]
	.loc	1 87 19 is_stmt 1               ; layer_norm_bwd.py:87:19
	s_add_i32 s64, s76, 0x68
	.loc	1 88 32                         ; layer_norm_bwd.py:88:32
	s_cmp_lt_i32 s64, s10
	.loc	1 89 35                         ; layer_norm_bwd.py:89:35
	v_readlane_b32 s66, v168, 10
	.loc	1 88 32                         ; layer_norm_bwd.py:88:32
	s_cselect_b64 s[64:65], -1, 0
	.loc	1 88 38 is_stmt 0               ; layer_norm_bwd.py:88:38
	s_and_b64 s[64:65], vcc, s[64:65]
	.loc	1 89 35 is_stmt 1               ; layer_norm_bwd.py:89:35
	v_add_u32_e32 v154, s66, v3
	.loc	1 90 27                         ; layer_norm_bwd.py:90:27
	v_ashrrev_i32_e32 v155, 31, v154
	.loc	1 90 22 is_stmt 0               ; layer_norm_bwd.py:90:22
	s_and_saveexec_b64 s[66:67], s[64:65]
	s_cbranch_execz .LBB0_57
; %bb.56:                               ;   in Loop: Header=BB0_3 Depth=1
	.loc	1 90 27                         ; layer_norm_bwd.py:90:27
	v_lshl_add_u64 v[106:107], v[154:155], 2, s[2:3]
	.loc	1 90 22                         ; layer_norm_bwd.py:90:22
	global_load_dword v106, v[106:107], off
.LBB0_57:                               ;   in Loop: Header=BB0_3 Depth=1
	.loc	1 0 22                          ; layer_norm_bwd.py:0:22
	s_or_b64 exec, exec, s[66:67]
	.loc	1 87 19 is_stmt 1               ; layer_norm_bwd.py:87:19
	s_add_i32 s66, s76, 0x6c
	.loc	1 88 32                         ; layer_norm_bwd.py:88:32
	s_cmp_lt_i32 s66, s10
	.loc	1 89 35                         ; layer_norm_bwd.py:89:35
	v_readlane_b32 s68, v168, 9
	.loc	1 88 32                         ; layer_norm_bwd.py:88:32
	s_cselect_b64 s[66:67], -1, 0
	.loc	1 88 38 is_stmt 0               ; layer_norm_bwd.py:88:38
	s_and_b64 s[66:67], vcc, s[66:67]
	.loc	1 89 35 is_stmt 1               ; layer_norm_bwd.py:89:35
	v_add_u32_e32 v156, s68, v3
	.loc	1 90 27                         ; layer_norm_bwd.py:90:27
	v_ashrrev_i32_e32 v157, 31, v156
	v_mov_b32_e32 v120, 0
	v_mov_b32_e32 v107, 0
	.loc	1 90 22 is_stmt 0               ; layer_norm_bwd.py:90:22
	s_and_saveexec_b64 s[68:69], s[66:67]
	s_cbranch_execz .LBB0_59
; %bb.58:                               ;   in Loop: Header=BB0_3 Depth=1
	.loc	1 90 27                         ; layer_norm_bwd.py:90:27
	v_lshl_add_u64 v[132:133], v[156:157], 2, s[2:3]
	.loc	1 90 22                         ; layer_norm_bwd.py:90:22
	global_load_dword v107, v[132:133], off
.LBB0_59:                               ;   in Loop: Header=BB0_3 Depth=1
	.loc	1 0 22                          ; layer_norm_bwd.py:0:22
	s_or_b64 exec, exec, s[68:69]
	.loc	1 87 19 is_stmt 1               ; layer_norm_bwd.py:87:19
	s_add_i32 s68, s76, 0x70
	.loc	1 88 32                         ; layer_norm_bwd.py:88:32
	s_cmp_lt_i32 s68, s10
	.loc	1 89 35                         ; layer_norm_bwd.py:89:35
	v_readlane_b32 s70, v168, 8
	.loc	1 88 32                         ; layer_norm_bwd.py:88:32
	s_cselect_b64 s[68:69], -1, 0
	.loc	1 88 38 is_stmt 0               ; layer_norm_bwd.py:88:38
	s_and_b64 s[68:69], vcc, s[68:69]
	.loc	1 89 35 is_stmt 1               ; layer_norm_bwd.py:89:35
	v_add_u32_e32 v158, s70, v3
	.loc	1 90 27                         ; layer_norm_bwd.py:90:27
	v_ashrrev_i32_e32 v159, 31, v158
	.loc	1 90 22 is_stmt 0               ; layer_norm_bwd.py:90:22
	s_and_saveexec_b64 s[70:71], s[68:69]
	s_cbranch_execz .LBB0_61
; %bb.60:                               ;   in Loop: Header=BB0_3 Depth=1
	.loc	1 90 27                         ; layer_norm_bwd.py:90:27
	v_lshl_add_u64 v[120:121], v[158:159], 2, s[2:3]
	.loc	1 90 22                         ; layer_norm_bwd.py:90:22
	global_load_dword v120, v[120:121], off
.LBB0_61:                               ;   in Loop: Header=BB0_3 Depth=1
	;; [unrolled: 52-line block ×3, first 2 shown]
	.loc	1 0 22                          ; layer_norm_bwd.py:0:22
	s_or_b64 exec, exec, s[74:75]
	.loc	1 88 32 is_stmt 1               ; layer_norm_bwd.py:88:32
	s_addk_i32 s76, 0x7c
	s_cmp_lt_i32 s76, s10
	.loc	1 90 27                         ; layer_norm_bwd.py:90:27
	v_readlane_b32 s76, v168, 5
	.loc	1 88 32                         ; layer_norm_bwd.py:88:32
	s_cselect_b64 s[74:75], -1, 0
	.loc	1 88 38 is_stmt 0               ; layer_norm_bwd.py:88:38
	s_and_b64 s[74:75], vcc, s[74:75]
	.loc	1 90 27 is_stmt 1               ; layer_norm_bwd.py:90:27
	v_add_u32_e32 v164, s76, v3
	v_ashrrev_i32_e32 v165, 31, v164
	v_mov_b32_e32 v136, 0
	v_mov_b32_e32 v133, 0
	.loc	1 90 22 is_stmt 0               ; layer_norm_bwd.py:90:22
	s_and_saveexec_b64 s[76:77], s[74:75]
	s_cbranch_execz .LBB0_67
; %bb.66:                               ;   in Loop: Header=BB0_3 Depth=1
	.loc	1 90 27                         ; layer_norm_bwd.py:90:27
	v_lshl_add_u64 v[166:167], v[164:165], 2, s[2:3]
	.loc	1 90 22                         ; layer_norm_bwd.py:90:22
	global_load_dword v133, v[166:167], off
.LBB0_67:                               ;   in Loop: Header=BB0_3 Depth=1
	.loc	1 0 22                          ; layer_norm_bwd.py:0:22
	s_or_b64 exec, exec, s[76:77]
	.loc	1 91 22 is_stmt 1               ; layer_norm_bwd.py:91:22
	s_and_saveexec_b64 s[76:77], s[0:1]
	s_cbranch_execz .LBB0_69
; %bb.68:                               ;   in Loop: Header=BB0_3 Depth=1
	.loc	1 0 22 is_stmt 0                ; layer_norm_bwd.py:0:22
	v_lshl_add_u64 v[92:93], v[92:93], 2, s[4:5]
	.loc	1 91 22                         ; layer_norm_bwd.py:91:22
	global_load_dword v136, v[92:93], off
.LBB0_69:                               ;   in Loop: Header=BB0_3 Depth=1
	.loc	1 0 22                          ; layer_norm_bwd.py:0:22
	s_or_b64 exec, exec, s[76:77]
	v_mov_b32_e32 v92, 0
	v_mov_b32_e32 v137, 0
	.loc	1 91 22                         ; layer_norm_bwd.py:91:22
	s_and_saveexec_b64 s[0:1], s[12:13]
	s_cbranch_execz .LBB0_71
; %bb.70:                               ;   in Loop: Header=BB0_3 Depth=1
	.loc	1 91 27                         ; layer_norm_bwd.py:91:27
	v_lshl_add_u64 v[96:97], v[96:97], 2, s[4:5]
	.loc	1 91 22                         ; layer_norm_bwd.py:91:22
	global_load_dword v137, v[96:97], off
.LBB0_71:                               ;   in Loop: Header=BB0_3 Depth=1
	.loc	1 0 22                          ; layer_norm_bwd.py:0:22
	s_or_b64 exec, exec, s[0:1]
	.loc	1 91 22                         ; layer_norm_bwd.py:91:22
	s_and_saveexec_b64 s[0:1], s[14:15]
	s_cbranch_execz .LBB0_73
; %bb.72:                               ;   in Loop: Header=BB0_3 Depth=1
	.loc	1 91 27                         ; layer_norm_bwd.py:91:27
	v_lshl_add_u64 v[92:93], v[98:99], 2, s[4:5]
	.loc	1 91 22                         ; layer_norm_bwd.py:91:22
	global_load_dword v92, v[92:93], off
.LBB0_73:                               ;   in Loop: Header=BB0_3 Depth=1
	.loc	1 0 22                          ; layer_norm_bwd.py:0:22
	s_or_b64 exec, exec, s[0:1]
	v_mov_b32_e32 v96, 0
	v_mov_b32_e32 v93, 0
	.loc	1 91 22                         ; layer_norm_bwd.py:91:22
	s_and_saveexec_b64 s[0:1], s[16:17]
	s_cbranch_execz .LBB0_75
; %bb.74:                               ;   in Loop: Header=BB0_3 Depth=1
	.loc	1 91 27                         ; layer_norm_bwd.py:91:27
	v_lshl_add_u64 v[98:99], v[100:101], 2, s[4:5]
	.loc	1 91 22                         ; layer_norm_bwd.py:91:22
	global_load_dword v93, v[98:99], off
.LBB0_75:                               ;   in Loop: Header=BB0_3 Depth=1
	.loc	1 0 22                          ; layer_norm_bwd.py:0:22
	s_or_b64 exec, exec, s[0:1]
	.loc	1 91 22                         ; layer_norm_bwd.py:91:22
	s_and_saveexec_b64 s[0:1], s[18:19]
	s_cbranch_execz .LBB0_77
; %bb.76:                               ;   in Loop: Header=BB0_3 Depth=1
	.loc	1 91 27                         ; layer_norm_bwd.py:91:27
	v_lshl_add_u64 v[96:97], v[102:103], 2, s[4:5]
	.loc	1 91 22                         ; layer_norm_bwd.py:91:22
	global_load_dword v96, v[96:97], off
.LBB0_77:                               ;   in Loop: Header=BB0_3 Depth=1
	.loc	1 0 22                          ; layer_norm_bwd.py:0:22
	s_or_b64 exec, exec, s[0:1]
	v_mov_b32_e32 v98, 0
	v_mov_b32_e32 v97, 0
	.loc	1 91 22                         ; layer_norm_bwd.py:91:22
	s_and_saveexec_b64 s[0:1], s[20:21]
	s_cbranch_execz .LBB0_79
; %bb.78:                               ;   in Loop: Header=BB0_3 Depth=1
	.loc	1 91 27                         ; layer_norm_bwd.py:91:27
	v_lshl_add_u64 v[100:101], v[104:105], 2, s[4:5]
	.loc	1 91 22                         ; layer_norm_bwd.py:91:22
	global_load_dword v97, v[100:101], off
.LBB0_79:                               ;   in Loop: Header=BB0_3 Depth=1
	.loc	1 0 22                          ; layer_norm_bwd.py:0:22
	s_or_b64 exec, exec, s[0:1]
	.loc	1 91 22                         ; layer_norm_bwd.py:91:22
	s_and_saveexec_b64 s[0:1], s[22:23]
	s_cbranch_execz .LBB0_81
; %bb.80:                               ;   in Loop: Header=BB0_3 Depth=1
	.loc	1 91 27                         ; layer_norm_bwd.py:91:27
	v_lshl_add_u64 v[98:99], v[108:109], 2, s[4:5]
	.loc	1 91 22                         ; layer_norm_bwd.py:91:22
	global_load_dword v98, v[98:99], off
.LBB0_81:                               ;   in Loop: Header=BB0_3 Depth=1
	.loc	1 0 22                          ; layer_norm_bwd.py:0:22
	s_or_b64 exec, exec, s[0:1]
	v_mov_b32_e32 v100, 0
	v_mov_b32_e32 v99, 0
	.loc	1 91 22                         ; layer_norm_bwd.py:91:22
	s_and_saveexec_b64 s[0:1], s[24:25]
	s_cbranch_execz .LBB0_83
; %bb.82:                               ;   in Loop: Header=BB0_3 Depth=1
	.loc	1 91 27                         ; layer_norm_bwd.py:91:27
	v_lshl_add_u64 v[102:103], v[110:111], 2, s[4:5]
	.loc	1 91 22                         ; layer_norm_bwd.py:91:22
	global_load_dword v99, v[102:103], off
.LBB0_83:                               ;   in Loop: Header=BB0_3 Depth=1
	.loc	1 0 22                          ; layer_norm_bwd.py:0:22
	s_or_b64 exec, exec, s[0:1]
	.loc	1 91 22                         ; layer_norm_bwd.py:91:22
	s_and_saveexec_b64 s[0:1], s[26:27]
	s_cbranch_execz .LBB0_85
; %bb.84:                               ;   in Loop: Header=BB0_3 Depth=1
	.loc	1 91 27                         ; layer_norm_bwd.py:91:27
	v_lshl_add_u64 v[100:101], v[112:113], 2, s[4:5]
	.loc	1 91 22                         ; layer_norm_bwd.py:91:22
	global_load_dword v100, v[100:101], off
.LBB0_85:                               ;   in Loop: Header=BB0_3 Depth=1
	.loc	1 0 22                          ; layer_norm_bwd.py:0:22
	s_or_b64 exec, exec, s[0:1]
	v_mov_b32_e32 v102, 0
	v_mov_b32_e32 v101, 0
	.loc	1 91 22                         ; layer_norm_bwd.py:91:22
	s_and_saveexec_b64 s[0:1], s[28:29]
	s_cbranch_execz .LBB0_87
; %bb.86:                               ;   in Loop: Header=BB0_3 Depth=1
	.loc	1 91 27                         ; layer_norm_bwd.py:91:27
	v_lshl_add_u64 v[104:105], v[114:115], 2, s[4:5]
	.loc	1 91 22                         ; layer_norm_bwd.py:91:22
	global_load_dword v101, v[104:105], off
.LBB0_87:                               ;   in Loop: Header=BB0_3 Depth=1
	.loc	1 0 22                          ; layer_norm_bwd.py:0:22
	s_or_b64 exec, exec, s[0:1]
	.loc	1 91 22                         ; layer_norm_bwd.py:91:22
	s_and_saveexec_b64 s[0:1], s[30:31]
	s_cbranch_execz .LBB0_89
; %bb.88:                               ;   in Loop: Header=BB0_3 Depth=1
	.loc	1 91 27                         ; layer_norm_bwd.py:91:27
	v_lshl_add_u64 v[102:103], v[116:117], 2, s[4:5]
	.loc	1 91 22                         ; layer_norm_bwd.py:91:22
	global_load_dword v102, v[102:103], off
.LBB0_89:                               ;   in Loop: Header=BB0_3 Depth=1
	.loc	1 0 22                          ; layer_norm_bwd.py:0:22
	s_or_b64 exec, exec, s[0:1]
	v_mov_b32_e32 v104, 0
	v_mov_b32_e32 v103, 0
	.loc	1 91 22                         ; layer_norm_bwd.py:91:22
	s_and_saveexec_b64 s[0:1], s[34:35]
	s_cbranch_execz .LBB0_91
; %bb.90:                               ;   in Loop: Header=BB0_3 Depth=1
	.loc	1 91 27                         ; layer_norm_bwd.py:91:27
	v_lshl_add_u64 v[108:109], v[118:119], 2, s[4:5]
	.loc	1 91 22                         ; layer_norm_bwd.py:91:22
	global_load_dword v103, v[108:109], off
.LBB0_91:                               ;   in Loop: Header=BB0_3 Depth=1
	.loc	1 0 22                          ; layer_norm_bwd.py:0:22
	s_or_b64 exec, exec, s[0:1]
	.loc	1 91 22                         ; layer_norm_bwd.py:91:22
	s_and_saveexec_b64 s[0:1], s[36:37]
	s_cbranch_execz .LBB0_93
; %bb.92:                               ;   in Loop: Header=BB0_3 Depth=1
	.loc	1 91 27                         ; layer_norm_bwd.py:91:27
	v_lshl_add_u64 v[104:105], v[122:123], 2, s[4:5]
	.loc	1 91 22                         ; layer_norm_bwd.py:91:22
	global_load_dword v104, v[104:105], off
.LBB0_93:                               ;   in Loop: Header=BB0_3 Depth=1
	.loc	1 0 22                          ; layer_norm_bwd.py:0:22
	s_or_b64 exec, exec, s[0:1]
	v_mov_b32_e32 v108, 0
	v_mov_b32_e32 v105, 0
	.loc	1 91 22                         ; layer_norm_bwd.py:91:22
	s_and_saveexec_b64 s[0:1], s[38:39]
	s_cbranch_execz .LBB0_95
; %bb.94:                               ;   in Loop: Header=BB0_3 Depth=1
	.loc	1 91 27                         ; layer_norm_bwd.py:91:27
	v_lshl_add_u64 v[110:111], v[124:125], 2, s[4:5]
	.loc	1 91 22                         ; layer_norm_bwd.py:91:22
	global_load_dword v105, v[110:111], off
.LBB0_95:                               ;   in Loop: Header=BB0_3 Depth=1
	.loc	1 0 22                          ; layer_norm_bwd.py:0:22
	s_or_b64 exec, exec, s[0:1]
	.loc	1 91 22                         ; layer_norm_bwd.py:91:22
	s_and_saveexec_b64 s[0:1], s[40:41]
	s_cbranch_execz .LBB0_97
; %bb.96:                               ;   in Loop: Header=BB0_3 Depth=1
	.loc	1 91 27                         ; layer_norm_bwd.py:91:27
	v_lshl_add_u64 v[108:109], v[126:127], 2, s[4:5]
	.loc	1 91 22                         ; layer_norm_bwd.py:91:22
	global_load_dword v108, v[108:109], off
.LBB0_97:                               ;   in Loop: Header=BB0_3 Depth=1
	.loc	1 0 22                          ; layer_norm_bwd.py:0:22
	s_or_b64 exec, exec, s[0:1]
	v_mov_b32_e32 v110, 0
	v_mov_b32_e32 v109, 0
	.loc	1 91 22                         ; layer_norm_bwd.py:91:22
	s_and_saveexec_b64 s[0:1], s[42:43]
	s_cbranch_execz .LBB0_99
; %bb.98:                               ;   in Loop: Header=BB0_3 Depth=1
	.loc	1 91 27                         ; layer_norm_bwd.py:91:27
	v_lshl_add_u64 v[112:113], v[128:129], 2, s[4:5]
	.loc	1 91 22                         ; layer_norm_bwd.py:91:22
	global_load_dword v109, v[112:113], off
.LBB0_99:                               ;   in Loop: Header=BB0_3 Depth=1
	.loc	1 0 22                          ; layer_norm_bwd.py:0:22
	s_or_b64 exec, exec, s[0:1]
	.loc	1 91 22                         ; layer_norm_bwd.py:91:22
	s_and_saveexec_b64 s[0:1], s[44:45]
	s_cbranch_execz .LBB0_101
; %bb.100:                              ;   in Loop: Header=BB0_3 Depth=1
	.loc	1 91 27                         ; layer_norm_bwd.py:91:27
	v_lshl_add_u64 v[110:111], v[130:131], 2, s[4:5]
	.loc	1 91 22                         ; layer_norm_bwd.py:91:22
	global_load_dword v110, v[110:111], off
.LBB0_101:                              ;   in Loop: Header=BB0_3 Depth=1
	.loc	1 0 22                          ; layer_norm_bwd.py:0:22
	s_or_b64 exec, exec, s[0:1]
	v_mov_b32_e32 v112, 0
	v_mov_b32_e32 v111, 0
	.loc	1 91 22                         ; layer_norm_bwd.py:91:22
	s_and_saveexec_b64 s[0:1], s[46:47]
	s_cbranch_execz .LBB0_103
; %bb.102:                              ;   in Loop: Header=BB0_3 Depth=1
	.loc	1 91 27                         ; layer_norm_bwd.py:91:27
	v_lshl_add_u64 v[114:115], v[134:135], 2, s[4:5]
	.loc	1 91 22                         ; layer_norm_bwd.py:91:22
	global_load_dword v111, v[114:115], off
.LBB0_103:                              ;   in Loop: Header=BB0_3 Depth=1
	.loc	1 0 22                          ; layer_norm_bwd.py:0:22
	s_or_b64 exec, exec, s[0:1]
	.loc	1 91 22                         ; layer_norm_bwd.py:91:22
	s_and_saveexec_b64 s[0:1], s[48:49]
	s_cbranch_execz .LBB0_105
; %bb.104:                              ;   in Loop: Header=BB0_3 Depth=1
	.loc	1 91 27                         ; layer_norm_bwd.py:91:27
	v_lshl_add_u64 v[112:113], v[138:139], 2, s[4:5]
	.loc	1 91 22                         ; layer_norm_bwd.py:91:22
	global_load_dword v112, v[112:113], off
.LBB0_105:                              ;   in Loop: Header=BB0_3 Depth=1
	.loc	1 0 22                          ; layer_norm_bwd.py:0:22
	s_or_b64 exec, exec, s[0:1]
	v_mov_b32_e32 v114, 0
	v_mov_b32_e32 v113, 0
	.loc	1 91 22                         ; layer_norm_bwd.py:91:22
	s_and_saveexec_b64 s[0:1], s[50:51]
	s_cbranch_execz .LBB0_107
; %bb.106:                              ;   in Loop: Header=BB0_3 Depth=1
	.loc	1 91 27                         ; layer_norm_bwd.py:91:27
	v_lshl_add_u64 v[116:117], v[140:141], 2, s[4:5]
	.loc	1 91 22                         ; layer_norm_bwd.py:91:22
	global_load_dword v113, v[116:117], off
.LBB0_107:                              ;   in Loop: Header=BB0_3 Depth=1
	;; [unrolled: 24-line block ×6, first 2 shown]
	.loc	1 0 22                          ; layer_norm_bwd.py:0:22
	s_or_b64 exec, exec, s[0:1]
	.loc	1 91 22                         ; layer_norm_bwd.py:91:22
	s_and_saveexec_b64 s[0:1], s[68:69]
	s_cbranch_execz .LBB0_125
; %bb.124:                              ;   in Loop: Header=BB0_3 Depth=1
	.loc	1 91 27                         ; layer_norm_bwd.py:91:27
	v_lshl_add_u64 v[116:117], v[158:159], 2, s[4:5]
	.loc	1 91 22                         ; layer_norm_bwd.py:91:22
	global_load_dword v126, v[116:117], off
.LBB0_125:                              ;   in Loop: Header=BB0_3 Depth=1
	.loc	1 0 22                          ; layer_norm_bwd.py:0:22
	s_or_b64 exec, exec, s[0:1]
	v_mov_b32_e32 v116, 0
	v_mov_b32_e32 v127, 0
	.loc	1 91 22                         ; layer_norm_bwd.py:91:22
	s_and_saveexec_b64 s[0:1], s[70:71]
	s_cbranch_execnz .LBB0_128
; %bb.126:                              ;   in Loop: Header=BB0_3 Depth=1
	.loc	1 0 22                          ; layer_norm_bwd.py:0:22
	s_or_b64 exec, exec, s[0:1]
	.loc	1 91 22                         ; layer_norm_bwd.py:91:22
	s_and_saveexec_b64 s[0:1], s[72:73]
	s_cbranch_execnz .LBB0_129
.LBB0_127:                              ;   in Loop: Header=BB0_3 Depth=1
	.loc	1 0 22                          ; layer_norm_bwd.py:0:22
	s_or_b64 exec, exec, s[0:1]
	v_mov_b32_e32 v117, 0
	.loc	1 91 22                         ; layer_norm_bwd.py:91:22
	s_and_saveexec_b64 s[0:1], s[74:75]
	s_cbranch_execz .LBB0_2
	s_branch .LBB0_130
.LBB0_128:                              ;   in Loop: Header=BB0_3 Depth=1
	.loc	1 91 27                         ; layer_norm_bwd.py:91:27
	v_lshl_add_u64 v[128:129], v[160:161], 2, s[4:5]
	.loc	1 91 22                         ; layer_norm_bwd.py:91:22
	global_load_dword v127, v[128:129], off
	s_or_b64 exec, exec, s[0:1]
	s_and_saveexec_b64 s[0:1], s[72:73]
	s_cbranch_execz .LBB0_127
.LBB0_129:                              ;   in Loop: Header=BB0_3 Depth=1
	.loc	1 91 27                         ; layer_norm_bwd.py:91:27
	v_lshl_add_u64 v[116:117], v[162:163], 2, s[4:5]
	.loc	1 91 22                         ; layer_norm_bwd.py:91:22
	global_load_dword v116, v[116:117], off
	s_or_b64 exec, exec, s[0:1]
	v_mov_b32_e32 v117, 0
	s_and_saveexec_b64 s[0:1], s[74:75]
	s_cbranch_execz .LBB0_2
.LBB0_130:                              ;   in Loop: Header=BB0_3 Depth=1
	.loc	1 91 27                         ; layer_norm_bwd.py:91:27
	v_lshl_add_u64 v[128:129], v[164:165], 2, s[4:5]
	.loc	1 91 22                         ; layer_norm_bwd.py:91:22
	global_load_dword v117, v[128:129], off
	s_branch .LBB0_2
.LBB0_131:                              ; %._crit_edge.loopexit
.Ltmp2:
	.file	2 "/root/.local/lib/python3.13/site-packages/triton/language" "standard.py"
	.loc	2 293 36 is_stmt 1              ; standard.py:293:36 @[ layer_norm_bwd.py:93:20 ]
	v_mov_b32_e32 v68, v66
	v_mov_b32_e32 v69, v58
	;; [unrolled: 1-line block ×3, first 2 shown]
	v_pk_add_f32 v[58:59], v[68:69], v[58:59]
	v_mov_b32_e32 v66, v64
	v_mov_b32_e32 v67, v54
	v_pk_add_f32 v[58:59], v[66:67], v[58:59]
	v_mov_b32_e32 v54, v65
	v_pk_add_f32 v[54:55], v[54:55], v[58:59]
	v_mov_b32_e32 v58, v62
	v_mov_b32_e32 v59, v50
	v_pk_add_f32 v[54:55], v[58:59], v[54:55]
	v_mov_b32_e32 v50, v63
	;; [unrolled: 5-line block ×9, first 2 shown]
	v_pk_add_f32 v[22:23], v[22:23], v[26:27]
	v_mov_b32_e32 v26, v32
	v_mov_b32_e32 v27, v18
	v_pk_add_f32 v[22:23], v[26:27], v[22:23]
.Ltmp3:
	.loc	2 263 15                        ; standard.py:263:15 @[ standard.py:293:36 @[ layer_norm_bwd.py:94:20 ] ]
	v_mov_b32_e32 v18, v33
	v_pk_add_f32 v[18:19], v[18:19], v[22:23]
	v_mov_b32_e32 v22, v28
	v_mov_b32_e32 v23, v14
	v_pk_add_f32 v[18:19], v[22:23], v[18:19]
	v_mov_b32_e32 v14, v29
	v_pk_add_f32 v[14:15], v[14:15], v[18:19]
	v_mov_b32_e32 v18, v24
	v_mov_b32_e32 v19, v10
	v_pk_add_f32 v[14:15], v[18:19], v[14:15]
	;; [unrolled: 5-line block ×5, first 2 shown]
	v_mov_b32_e32 v4, v13
	v_readlane_b32 s6, v168, 3
	v_pk_add_f32 v[4:5], v[4:5], v[6:7]
	v_readlane_b32 s7, v168, 4
	v_readlane_b32 s13, v168, 12
	s_branch .LBB0_133
.Ltmp4:
.LBB0_132:
	.loc	2 0 15 is_stmt 0                ; standard.py:0:15
	v_mov_b32_e32 v5, 0
	v_mov_b32_e32 v4, 0
.LBB0_133:                              ; %._crit_edge
.Ltmp5:
	.loc	2 293 36 is_stmt 1              ; standard.py:293:36 @[ layer_norm_bwd.py:93:20 ]
	v_lshl_add_u32 v1, v1, 4, 0
	v_lshl_add_u32 v6, s13, 2, v1
	;; [unrolled: 1-line block ×3, first 2 shown]
	ds_write_b32 v6, v4
	s_waitcnt lgkmcnt(0)
	s_barrier
	ds_read_b32 v4, v3
	v_and_b32_e32 v0, 3, v0
	v_cmp_eq_u32_e64 s[0:1], 0, v0
	s_waitcnt lgkmcnt(0)
	v_mov_b32_e32 v7, v4
	s_nop 1
	v_mov_b32_dpp v7, v7 quad_perm:[2,3,0,1] row_mask:0xf bank_mask:0xf
.Ltmp6:
	.loc	2 263 15                        ; standard.py:263:15 @[ standard.py:293:36 @[ layer_norm_bwd.py:93:20 ] ]
	v_add_f32_e32 v4, v4, v7
.Ltmp7:
	.loc	2 293 36                        ; standard.py:293:36 @[ layer_norm_bwd.py:93:20 ]
	v_mov_b32_e32 v7, v4
	s_nop 1
	v_mov_b32_dpp v7, v7 quad_perm:[1,0,3,2] row_mask:0xf bank_mask:0xf
	s_and_saveexec_b64 s[2:3], s[0:1]
; %bb.134:
	.loc	2 0 36 is_stmt 0                ; standard.py:0:36
	v_add_f32_e32 v0, v4, v7
	.loc	2 293 36                        ; standard.py:293:36 @[ layer_norm_bwd.py:93:20 ]
	ds_write_b32 v3, v0
; %bb.135:
	.loc	2 0 36                          ; standard.py:0:36
	s_or_b64 exec, exec, s[2:3]
	.loc	2 293 36                        ; standard.py:293:36 @[ layer_norm_bwd.py:93:20 ]
	s_waitcnt lgkmcnt(0)
	s_barrier
	ds_read_b32 v7, v1
.Ltmp8:
	.loc	2 293 36                        ; standard.py:293:36 @[ layer_norm_bwd.py:94:20 ]
	s_waitcnt lgkmcnt(0)
	s_barrier
	ds_write_b32 v6, v5
	s_waitcnt lgkmcnt(0)
	s_barrier
	ds_read_b32 v0, v3
	s_waitcnt lgkmcnt(0)
	v_mov_b32_e32 v4, v0
	s_nop 1
	v_mov_b32_dpp v4, v4 quad_perm:[2,3,0,1] row_mask:0xf bank_mask:0xf
.Ltmp9:
	.loc	2 263 15 is_stmt 1              ; standard.py:263:15 @[ standard.py:293:36 @[ layer_norm_bwd.py:94:20 ] ]
	v_add_f32_e32 v0, v0, v4
.Ltmp10:
	.loc	2 293 36                        ; standard.py:293:36 @[ layer_norm_bwd.py:94:20 ]
	v_mov_b32_e32 v4, v0
	s_nop 1
	v_mov_b32_dpp v4, v4 quad_perm:[1,0,3,2] row_mask:0xf bank_mask:0xf
	s_and_saveexec_b64 s[2:3], s[0:1]
; %bb.136:
	.loc	2 0 36 is_stmt 0                ; standard.py:0:36
	v_add_f32_e32 v0, v0, v4
	.loc	2 293 36                        ; standard.py:293:36 @[ layer_norm_bwd.py:94:20 ]
	ds_write_b32 v3, v0
.Ltmp11:
; %bb.137:
	.loc	2 0 36                          ; standard.py:0:36
	s_or_b64 exec, exec, s[2:3]
	.loc	1 95 30 is_stmt 1               ; layer_norm_bwd.py:95:30
	v_readlane_b32 s0, v168, 2
	s_and_b32 s0, s0, 0x180
	s_cselect_b64 s[0:1], 0, -1
	s_and_b64 s[0:1], s[0:1], vcc
.Ltmp12:
	.loc	2 293 36                        ; standard.py:293:36 @[ layer_norm_bwd.py:94:20 ]
	s_waitcnt lgkmcnt(0)
	s_barrier
.Ltmp13:
	.loc	1 95 30                         ; layer_norm_bwd.py:95:30
	s_and_saveexec_b64 s[2:3], s[0:1]
	s_cbranch_execz .LBB0_139
; %bb.138:
	.loc	1 96 30                         ; layer_norm_bwd.py:96:30
	ds_read_b32 v4, v1
	v_ashrrev_i32_e32 v3, 31, v2
	v_readlane_b32 s0, v168, 0
	v_lshlrev_b64 v[0:1], 2, v[2:3]
	v_readlane_b32 s1, v168, 1
	s_nop 1
	v_lshl_add_u64 v[2:3], s[0:1], 0, v[0:1]
	v_lshl_add_u64 v[0:1], s[6:7], 0, v[0:1]
	.loc	1 95 30                         ; layer_norm_bwd.py:95:30
	global_store_dword v[0:1], v7, off
	.loc	1 96 30                         ; layer_norm_bwd.py:96:30
	s_waitcnt lgkmcnt(0)
	global_store_dword v[2:3], v4, off
.LBB0_139:                              ; %.critedge
	.loc	1 96 4                          ; layer_norm_bwd.py:96:4
	s_endpgm
.Ltmp14:
	.section	.rodata,"a",@progbits
	.p2align	6, 0x0
	.amdhsa_kernel _layer_norm_bwd_dwdb
		.amdhsa_group_segment_fixed_size 0
		.amdhsa_private_segment_fixed_size 0
		.amdhsa_kernarg_size 56
		.amdhsa_user_sgpr_count 16
		.amdhsa_user_sgpr_dispatch_ptr 0
		.amdhsa_user_sgpr_queue_ptr 0
		.amdhsa_user_sgpr_kernarg_segment_ptr 1
		.amdhsa_user_sgpr_dispatch_id 0
		.amdhsa_user_sgpr_kernarg_preload_length 14
		.amdhsa_user_sgpr_kernarg_preload_offset 0
		.amdhsa_user_sgpr_private_segment_size 0
		.amdhsa_uses_dynamic_stack 0
		.amdhsa_enable_private_segment 0
		.amdhsa_system_sgpr_workgroup_id_x 1
		.amdhsa_system_sgpr_workgroup_id_y 0
		.amdhsa_system_sgpr_workgroup_id_z 0
		.amdhsa_system_sgpr_workgroup_info 0
		.amdhsa_system_vgpr_workitem_id 0
		.amdhsa_next_free_vgpr 169
		.amdhsa_next_free_sgpr 100
		.amdhsa_accum_offset 172
		.amdhsa_reserve_vcc 1
		.amdhsa_reserve_xnack_mask 1
		.amdhsa_float_round_mode_32 0
		.amdhsa_float_round_mode_16_64 0
		.amdhsa_float_denorm_mode_32 3
		.amdhsa_float_denorm_mode_16_64 3
		.amdhsa_dx10_clamp 1
		.amdhsa_ieee_mode 1
		.amdhsa_fp16_overflow 0
		.amdhsa_tg_split 0
		.amdhsa_exception_fp_ieee_invalid_op 0
		.amdhsa_exception_fp_denorm_src 0
		.amdhsa_exception_fp_ieee_div_zero 0
		.amdhsa_exception_fp_ieee_overflow 0
		.amdhsa_exception_fp_ieee_underflow 0
		.amdhsa_exception_fp_ieee_inexact 0
		.amdhsa_exception_int_div_zero 0
	.end_amdhsa_kernel
	.text
.Lfunc_end0:
	.size	_layer_norm_bwd_dwdb, .Lfunc_end0-_layer_norm_bwd_dwdb
	.cfi_endproc
                                        ; -- End function
	.set _layer_norm_bwd_dwdb.num_vgpr, 169
	.set _layer_norm_bwd_dwdb.num_agpr, 0
	.set _layer_norm_bwd_dwdb.numbered_sgpr, 100
	.set _layer_norm_bwd_dwdb.num_named_barrier, 0
	.set _layer_norm_bwd_dwdb.private_seg_size, 0
	.set _layer_norm_bwd_dwdb.uses_vcc, 1
	.set _layer_norm_bwd_dwdb.uses_flat_scratch, 0
	.set _layer_norm_bwd_dwdb.has_dyn_sized_stack, 0
	.set _layer_norm_bwd_dwdb.has_recursion, 0
	.set _layer_norm_bwd_dwdb.has_indirect_call, 0
	.section	.AMDGPU.csdata,"",@progbits
; Kernel info:
; codeLenInByte = 5568
; TotalNumSgprs: 106
; NumVgprs: 169
; NumAgprs: 0
; TotalNumVgprs: 169
; ScratchSize: 0
; MemoryBound: 0
; FloatMode: 240
; IeeeMode: 1
; LDSByteSize: 0 bytes/workgroup (compile time only)
; SGPRBlocks: 13
; VGPRBlocks: 21
; NumSGPRsForWavesPerEU: 106
; NumVGPRsForWavesPerEU: 169
; AccumOffset: 172
; Occupancy: 2
; WaveLimiterHint : 0
; COMPUTE_PGM_RSRC2:SCRATCH_EN: 0
; COMPUTE_PGM_RSRC2:USER_SGPR: 16
; COMPUTE_PGM_RSRC2:TRAP_HANDLER: 0
; COMPUTE_PGM_RSRC2:TGID_X_EN: 1
; COMPUTE_PGM_RSRC2:TGID_Y_EN: 0
; COMPUTE_PGM_RSRC2:TGID_Z_EN: 0
; COMPUTE_PGM_RSRC2:TIDIG_COMP_CNT: 0
; COMPUTE_PGM_RSRC3_GFX90A:ACCUM_OFFSET: 42
; COMPUTE_PGM_RSRC3_GFX90A:TG_SPLIT: 0
	.text
	.p2alignl 6, 3212836864
	.fill 256, 4, 3212836864
	.section	.AMDGPU.gpr_maximums,"",@progbits
	.set amdgpu.max_num_vgpr, 0
	.set amdgpu.max_num_agpr, 0
	.set amdgpu.max_num_sgpr, 0
	.set amdgpu.max_num_named_barrier, 0
	.text
	.section	.debug_abbrev,"",@progbits
	.byte	1                               ; Abbreviation Code
	.byte	17                              ; DW_TAG_compile_unit
	.byte	1                               ; DW_CHILDREN_yes
	.byte	37                              ; DW_AT_producer
	.byte	14                              ; DW_FORM_strp
	.byte	19                              ; DW_AT_language
	.byte	5                               ; DW_FORM_data2
	.byte	3                               ; DW_AT_name
	.byte	14                              ; DW_FORM_strp
	.byte	16                              ; DW_AT_stmt_list
	.byte	23                              ; DW_FORM_sec_offset
	.byte	27                              ; DW_AT_comp_dir
	.byte	14                              ; DW_FORM_strp
	.byte	17                              ; DW_AT_low_pc
	.byte	1                               ; DW_FORM_addr
	.byte	18                              ; DW_AT_high_pc
	.byte	6                               ; DW_FORM_data4
	.byte	0                               ; EOM(1)
	.byte	0                               ; EOM(2)
	.byte	2                               ; Abbreviation Code
	.byte	46                              ; DW_TAG_subprogram
	.byte	0                               ; DW_CHILDREN_no
	.byte	3                               ; DW_AT_name
	.byte	14                              ; DW_FORM_strp
	.byte	32                              ; DW_AT_inline
	.byte	11                              ; DW_FORM_data1
	.byte	0                               ; EOM(1)
	.byte	0                               ; EOM(2)
	.byte	3                               ; Abbreviation Code
	.byte	46                              ; DW_TAG_subprogram
	.byte	1                               ; DW_CHILDREN_yes
	.byte	17                              ; DW_AT_low_pc
	.byte	1                               ; DW_FORM_addr
	.byte	18                              ; DW_AT_high_pc
	.byte	6                               ; DW_FORM_data4
	.byte	49                              ; DW_AT_abstract_origin
	.byte	19                              ; DW_FORM_ref4
	.byte	0                               ; EOM(1)
	.byte	0                               ; EOM(2)
	.byte	4                               ; Abbreviation Code
	.byte	29                              ; DW_TAG_inlined_subroutine
	.byte	1                               ; DW_CHILDREN_yes
	.byte	49                              ; DW_AT_abstract_origin
	.byte	19                              ; DW_FORM_ref4
	.byte	85                              ; DW_AT_ranges
	.byte	23                              ; DW_FORM_sec_offset
	.byte	88                              ; DW_AT_call_file
	.byte	11                              ; DW_FORM_data1
	.byte	89                              ; DW_AT_call_line
	.byte	11                              ; DW_FORM_data1
	.byte	87                              ; DW_AT_call_column
	.byte	11                              ; DW_FORM_data1
	.byte	0                               ; EOM(1)
	.byte	0                               ; EOM(2)
	.byte	5                               ; Abbreviation Code
	.byte	29                              ; DW_TAG_inlined_subroutine
	.byte	0                               ; DW_CHILDREN_no
	.byte	49                              ; DW_AT_abstract_origin
	.byte	19                              ; DW_FORM_ref4
	.byte	17                              ; DW_AT_low_pc
	.byte	1                               ; DW_FORM_addr
	.byte	18                              ; DW_AT_high_pc
	.byte	6                               ; DW_FORM_data4
	.byte	88                              ; DW_AT_call_file
	.byte	11                              ; DW_FORM_data1
	.byte	89                              ; DW_AT_call_line
	.byte	5                               ; DW_FORM_data2
	.byte	87                              ; DW_AT_call_column
	.byte	11                              ; DW_FORM_data1
	.byte	0                               ; EOM(1)
	.byte	0                               ; EOM(2)
	.byte	6                               ; Abbreviation Code
	.byte	29                              ; DW_TAG_inlined_subroutine
	.byte	0                               ; DW_CHILDREN_no
	.byte	49                              ; DW_AT_abstract_origin
	.byte	19                              ; DW_FORM_ref4
	.byte	85                              ; DW_AT_ranges
	.byte	23                              ; DW_FORM_sec_offset
	.byte	88                              ; DW_AT_call_file
	.byte	11                              ; DW_FORM_data1
	.byte	89                              ; DW_AT_call_line
	.byte	5                               ; DW_FORM_data2
	.byte	87                              ; DW_AT_call_column
	.byte	11                              ; DW_FORM_data1
	.byte	0                               ; EOM(1)
	.byte	0                               ; EOM(2)
	;; [unrolled: 1-line block ×3, first 2 shown]
	.section	.debug_info,"",@progbits
.Lcu_begin0:
	.long	.Ldebug_info_end0-.Ldebug_info_start0 ; Length of Unit
.Ldebug_info_start0:
	.short	4                               ; DWARF version number
	.long	.debug_abbrev                   ; Offset Into Abbrev. Section
	.byte	8                               ; Address Size (in bytes)
	.byte	1                               ; Abbrev [1] 0xb:0x74 DW_TAG_compile_unit
	.long	.Linfo_string0                  ; DW_AT_producer
	.short	2                               ; DW_AT_language
	.long	.Linfo_string1                  ; DW_AT_name
	.long	.Lline_table_start0             ; DW_AT_stmt_list
	.long	.Linfo_string2                  ; DW_AT_comp_dir
	.quad	.Lfunc_begin0                   ; DW_AT_low_pc
	.long	.Lfunc_end0-.Lfunc_begin0       ; DW_AT_high_pc
	.byte	2                               ; Abbrev [2] 0x2a:0x6 DW_TAG_subprogram
	.long	.Linfo_string3                  ; DW_AT_name
	.byte	1                               ; DW_AT_inline
	.byte	3                               ; Abbrev [3] 0x30:0x4e DW_TAG_subprogram
	.quad	.Lfunc_begin0                   ; DW_AT_low_pc
	.long	.Lfunc_end0-.Lfunc_begin0       ; DW_AT_high_pc
	.long	42                              ; DW_AT_abstract_origin
	.byte	4                               ; Abbrev [4] 0x41:0x22 DW_TAG_inlined_subroutine
	.long	42                              ; DW_AT_abstract_origin
	.long	.Ldebug_ranges0                 ; DW_AT_ranges
	.byte	1                               ; DW_AT_call_file
	.byte	93                              ; DW_AT_call_line
	.byte	20                              ; DW_AT_call_column
	.byte	5                               ; Abbrev [5] 0x4d:0x15 DW_TAG_inlined_subroutine
	.long	42                              ; DW_AT_abstract_origin
	.quad	.Ltmp6                          ; DW_AT_low_pc
	.long	.Ltmp7-.Ltmp6                   ; DW_AT_high_pc
	.byte	2                               ; DW_AT_call_file
	.short	293                             ; DW_AT_call_line
	.byte	36                              ; DW_AT_call_column
	.byte	0                               ; End Of Children Mark
	.byte	4                               ; Abbrev [4] 0x63:0x1a DW_TAG_inlined_subroutine
	.long	42                              ; DW_AT_abstract_origin
	.long	.Ldebug_ranges1                 ; DW_AT_ranges
	.byte	1                               ; DW_AT_call_file
	.byte	94                              ; DW_AT_call_line
	.byte	20                              ; DW_AT_call_column
	.byte	6                               ; Abbrev [6] 0x6f:0xd DW_TAG_inlined_subroutine
	.long	42                              ; DW_AT_abstract_origin
	.long	.Ldebug_ranges2                 ; DW_AT_ranges
	.byte	2                               ; DW_AT_call_file
	.short	293                             ; DW_AT_call_line
	.byte	36                              ; DW_AT_call_column
	.byte	0                               ; End Of Children Mark
	.byte	0                               ; End Of Children Mark
	;; [unrolled: 1-line block ×3, first 2 shown]
.Ldebug_info_end0:
	.section	.debug_ranges,"",@progbits
.Ldebug_ranges0:
	.quad	.Ltmp2-.Lfunc_begin0
	.quad	.Ltmp3-.Lfunc_begin0
	;; [unrolled: 1-line block ×4, first 2 shown]
	.quad	0
	.quad	0
.Ldebug_ranges1:
	.quad	.Ltmp3-.Lfunc_begin0
	.quad	.Ltmp4-.Lfunc_begin0
	.quad	.Ltmp8-.Lfunc_begin0
	.quad	.Ltmp11-.Lfunc_begin0
	.quad	.Ltmp12-.Lfunc_begin0
	.quad	.Ltmp13-.Lfunc_begin0
	.quad	0
	.quad	0
.Ldebug_ranges2:
	.quad	.Ltmp3-.Lfunc_begin0
	.quad	.Ltmp4-.Lfunc_begin0
	.quad	.Ltmp9-.Lfunc_begin0
	.quad	.Ltmp10-.Lfunc_begin0
	.quad	0
	.quad	0
	.section	.debug_str,"MS",@progbits,1
.Linfo_string0:
	.asciz	"triton"                        ; string offset=0
.Linfo_string1:
	.asciz	"layer_norm_bwd.py"             ; string offset=7
.Linfo_string2:
	.asciz	"/root/src/amdgpu-assembly/repos/triton-lang__triton-aot" ; string offset=25
.Linfo_string3:
	.asciz	"_layer_norm_bwd_dwdb"          ; string offset=81
	.section	".note.GNU-stack","",@progbits
	.amdgpu_metadata
---
amdhsa.kernels:
  - .agpr_count:     0
    .args:
      - .address_space:  global
        .offset:         0
        .size:           8
        .value_kind:     global_buffer
      - .address_space:  global
        .offset:         8
        .size:           8
        .value_kind:     global_buffer
      - .address_space:  global
        .offset:         16
        .size:           8
        .value_kind:     global_buffer
      - .address_space:  global
        .offset:         24
        .size:           8
        .value_kind:     global_buffer
      - .offset:         32
        .size:           4
        .value_kind:     by_value
      - .offset:         36
        .size:           4
        .value_kind:     by_value
      - .address_space:  global
        .offset:         40
        .size:           8
        .value_kind:     global_buffer
      - .address_space:  global
        .offset:         48
        .size:           8
        .value_kind:     global_buffer
    .group_segment_fixed_size: 0
    .kernarg_segment_align: 8
    .kernarg_segment_size: 56
    .max_flat_workgroup_size: 512
    .name:           _layer_norm_bwd_dwdb
    .private_segment_fixed_size: 0
    .sgpr_count:     106
    .sgpr_spill_count: 21
    .symbol:         _layer_norm_bwd_dwdb.kd
    .uniform_work_group_size: 1
    .uses_dynamic_stack: false
    .vgpr_count:     169
    .vgpr_spill_count: 0
    .wavefront_size: 64
amdhsa.target:   amdgcn-amd-amdhsa--gfx950
amdhsa.version:
  - 1
  - 2
...

	.end_amdgpu_metadata
	.section	.debug_line,"",@progbits
.Lline_table_start0:
